;; amdgpu-corpus repo=amd/amd-lab-notes kind=compiled arch=gfx950 opt=O3
	.amdgcn_target "amdgcn-amd-amdhsa--gfx950"
	.amdhsa_code_object_version 6
	.text
	.protected	_Z6kernelPdS_S_S_S_S_S_S_S_S_S_S_S_S_S_S_S_S_S_S_S_S_S_S_S_S_S_S_S_S_S_iiiiiiiddddddddddddddd ; -- Begin function _Z6kernelPdS_S_S_S_S_S_S_S_S_S_S_S_S_S_S_S_S_S_S_S_S_S_S_S_S_S_S_S_S_S_iiiiiiiddddddddddddddd
	.globl	_Z6kernelPdS_S_S_S_S_S_S_S_S_S_S_S_S_S_S_S_S_S_S_S_S_S_S_S_S_S_S_S_S_S_iiiiiiiddddddddddddddd
	.p2align	8
	.type	_Z6kernelPdS_S_S_S_S_S_S_S_S_S_S_S_S_S_S_S_S_S_S_S_S_S_S_S_S_S_S_S_S_S_iiiiiiiddddddddddddddd,@function
_Z6kernelPdS_S_S_S_S_S_S_S_S_S_S_S_S_S_S_S_S_S_S_S_S_S_S_S_S_S_S_S_S_S_iiiiiiiddddddddddddddd: ; @_Z6kernelPdS_S_S_S_S_S_S_S_S_S_S_S_S_S_S_S_S_S_S_S_S_S_S_S_S_S_S_S_S_S_iiiiiiiddddddddddddddd
; %bb.0:
	s_load_dwordx2 s[6:7], s[0:1], 0x19c
	s_load_dwordx4 s[28:31], s[0:1], 0xf8
	v_and_b32_e32 v1, 0x3ff, v0
	s_waitcnt lgkmcnt(0)
	s_and_b32 s5, s7, 0xffff
	s_lshr_b32 s7, s6, 16
	s_and_b32 s6, s6, 0xffff
	s_mul_i32 s2, s2, s6
	v_add_u32_e32 v2, s2, v1
	s_mul_i32 s3, s3, s7
	v_bfe_u32 v1, v0, 10, 10
	v_add_u32_e32 v4, s3, v1
	s_mul_i32 s4, s4, s5
	v_bfe_u32 v0, v0, 20, 10
	v_add_u32_e32 v0, s4, v0
	v_cmp_ge_i32_e32 vcc, s28, v2
	v_cmp_ge_i32_e64 s[2:3], s29, v4
	s_and_b64 s[2:3], vcc, s[2:3]
	v_cmp_ge_i32_e32 vcc, s30, v0
	s_and_b64 s[2:3], s[2:3], vcc
	s_and_saveexec_b64 s[4:5], s[2:3]
	s_cbranch_execz .LBB0_2
; %bb.1:
	s_load_dwordx4 s[92:95], s[0:1], 0x108
	s_load_dwordx16 s[52:67], s[0:1], 0x0
	s_mov_b32 s29, 0x3fe62e42
	s_mov_b32 s28, 0xfefa39ef
	;; [unrolled: 1-line block ×3, first 2 shown]
	s_waitcnt lgkmcnt(0)
	v_mad_u64_u32 v[0:1], s[2:3], v0, s92, v[4:5]
	v_mad_u64_u32 v[2:3], s[2:3], v0, s31, v[2:3]
	v_ashrrev_i32_e32 v3, 31, v2
	v_lshlrev_b64 v[4:5], 3, v[2:3]
	v_lshl_add_u64 v[0:1], s[52:53], 0, v[4:5]
	global_load_dwordx2 v[0:1], v[0:1], off
	v_mov_b32_e32 v3, 0x3ff00000
	s_mov_b32 s3, 0x3fe55555
	s_mov_b32 s2, 0x55555555
	;; [unrolled: 1-line block ×4, first 2 shown]
	v_mov_b32_e32 v10, 0x968915a9
	v_mov_b32_e32 v11, 0x3fba6564
	s_mov_b32 s53, 0x3fbdee67
	v_mov_b32_e32 v12, 0x3abe935a
	v_mov_b32_e32 v13, 0x3fbe25e4
	;; [unrolled: 1-line block ×14, first 2 shown]
	s_mov_b32 s68, 0xd5df274d
	s_mov_b32 s69, 0x3c8543b0
	v_mov_b32_e32 v6, 0
	s_movk_i32 s30, 0x204
	s_load_dwordx16 s[36:51], s[0:1], 0x40
	s_load_dwordx16 s[4:19], s[0:1], 0x80
	s_load_dwordx8 s[20:27], s[0:1], 0xc0
	v_lshl_add_u64 v[52:53], s[62:63], 0, v[4:5]
	global_load_dwordx2 v[64:65], v[52:53], off
	v_add_u32_e32 v8, s93, v2
	s_brev_b32 s33, -2
	s_waitcnt lgkmcnt(0)
	v_lshl_add_u64 v[62:63], s[44:45], 0, v[4:5]
	global_load_dwordx2 v[92:93], v[62:63], off
	s_load_dwordx8 s[84:91], s[0:1], 0xe0
	v_mov_b32_e32 v90, 0x7ff80000
	s_waitcnt vmcnt(2)
	v_frexp_mant_f64_e64 v[26:27], |v[0:1]|
	v_cmp_eq_f64_e32 vcc, 1.0, v[0:1]
	v_frexp_exp_i32_f64_e32 v9, v[0:1]
	s_nop 0
	v_cndmask_b32_e32 v7, 2.0, v3, vcc
	v_cmp_gt_f64_e32 vcc, s[2:3], v[26:27]
	s_nop 1
	v_cndmask_b32_e64 v28, 0, 1, vcc
	v_ldexp_f64 v[26:27], v[26:27], v28
	v_add_f64 v[32:33], v[26:27], 1.0
	v_rcp_f64_e32 v[38:39], v[32:33]
	v_subbrev_co_u32_e32 v9, vcc, 0, v9, vcc
	v_cvt_f64_i32_e32 v[28:29], v9
	v_add_f64 v[36:37], v[32:33], -1.0
	v_add_f64 v[30:31], v[26:27], -1.0
	v_mul_f64 v[34:35], v[28:29], s[28:29]
	v_add_f64 v[26:27], v[26:27], -v[36:37]
	v_fma_f64 v[36:37], -v[32:33], v[38:39], 1.0
	v_fma_f64 v[40:41], v[28:29], s[28:29], -v[34:35]
	v_fmac_f64_e32 v[38:39], v[36:37], v[38:39]
	v_fmac_f64_e32 v[40:41], s[34:35], v[28:29]
	v_fma_f64 v[36:37], -v[32:33], v[38:39], 1.0
	v_add_f64 v[28:29], v[34:35], v[40:41]
	v_fmac_f64_e32 v[38:39], v[36:37], v[38:39]
	v_add_f64 v[34:35], v[28:29], -v[34:35]
	v_mul_f64 v[36:37], v[30:31], v[38:39]
	v_add_f64 v[34:35], v[40:41], -v[34:35]
	v_mul_f64 v[40:41], v[32:33], v[36:37]
	v_fma_f64 v[32:33], v[36:37], v[32:33], -v[40:41]
	v_fmac_f64_e32 v[32:33], v[36:37], v[26:27]
	v_add_f64 v[26:27], v[40:41], v[32:33]
	v_add_f64 v[42:43], v[30:31], -v[26:27]
	v_add_f64 v[40:41], v[26:27], -v[40:41]
	;; [unrolled: 1-line block ×5, first 2 shown]
	v_add_f64 v[26:27], v[32:33], v[26:27]
	v_add_f64 v[26:27], v[42:43], v[26:27]
	v_mul_f64 v[26:27], v[38:39], v[26:27]
	v_add_f64 v[30:31], v[36:37], v[26:27]
	v_add_f64 v[32:33], v[30:31], -v[36:37]
	v_mul_f64 v[36:37], v[30:31], v[30:31]
	v_add_f64 v[26:27], v[26:27], -v[32:33]
	v_fma_f64 v[32:33], v[30:31], v[30:31], -v[36:37]
	v_add_f64 v[40:41], v[26:27], v[26:27]
	v_fmac_f64_e32 v[32:33], v[30:31], v[40:41]
	v_add_f64 v[40:41], v[36:37], v[32:33]
	v_fmac_f64_e32 v[10:11], s[52:53], v[40:41]
	v_fmac_f64_e32 v[12:13], v[40:41], v[10:11]
	v_mul_f64 v[44:45], v[30:31], v[40:41]
	v_fmac_f64_e32 v[14:15], v[40:41], v[12:13]
	v_add_f64 v[36:37], v[40:41], -v[36:37]
	v_fma_f64 v[10:11], v[40:41], v[30:31], -v[44:45]
	v_fmac_f64_e32 v[16:17], v[40:41], v[14:15]
	v_add_f64 v[32:33], v[32:33], -v[36:37]
	v_fmac_f64_e32 v[10:11], v[40:41], v[26:27]
	v_fmac_f64_e32 v[18:19], v[40:41], v[16:17]
	;; [unrolled: 1-line block ×4, first 2 shown]
	v_add_f64 v[12:13], v[44:45], v[10:11]
	v_fmac_f64_e32 v[22:23], v[40:41], v[20:21]
	v_add_f64 v[14:15], v[12:13], -v[44:45]
	v_fmac_f64_e32 v[24:25], v[40:41], v[22:23]
	v_add_f64 v[10:11], v[10:11], -v[14:15]
	v_mul_f64 v[14:15], v[40:41], v[24:25]
	v_fma_f64 v[16:17], v[40:41], v[24:25], -v[14:15]
	v_fmac_f64_e32 v[16:17], v[32:33], v[24:25]
	v_add_f64 v[18:19], v[14:15], v[16:17]
	v_add_f64 v[14:15], v[18:19], -v[14:15]
	v_add_f64 v[20:21], v[18:19], s[2:3]
	s_mov_b32 s3, 0xbfe55555
	v_add_f64 v[14:15], v[16:17], -v[14:15]
	v_add_f64 v[16:17], v[20:21], s[2:3]
	v_add_f64 v[16:17], v[18:19], -v[16:17]
	v_add_f64 v[14:15], v[14:15], s[68:69]
	v_add_f64 v[14:15], v[14:15], v[16:17]
	;; [unrolled: 1-line block ×3, first 2 shown]
	v_add_f64 v[18:19], v[20:21], -v[16:17]
	v_mul_f64 v[20:21], v[12:13], v[16:17]
	v_add_f64 v[14:15], v[14:15], v[18:19]
	v_fma_f64 v[18:19], v[12:13], v[16:17], -v[20:21]
	v_fmac_f64_e32 v[18:19], v[12:13], v[14:15]
	v_fmac_f64_e32 v[18:19], v[10:11], v[16:17]
	v_ldexp_f64 v[38:39], v[30:31], 1
	v_add_f64 v[10:11], v[20:21], v[18:19]
	v_add_f64 v[12:13], v[10:11], -v[20:21]
	v_add_f64 v[14:15], v[38:39], v[10:11]
	v_ldexp_f64 v[42:43], v[26:27], 1
	v_add_f64 v[12:13], v[18:19], -v[12:13]
	v_add_f64 v[16:17], v[14:15], -v[38:39]
	;; [unrolled: 1-line block ×3, first 2 shown]
	v_add_f64 v[12:13], v[42:43], v[12:13]
	v_add_f64 v[10:11], v[12:13], v[10:11]
	;; [unrolled: 1-line block ×3, first 2 shown]
	v_add_f64 v[14:15], v[12:13], -v[14:15]
	v_add_f64 v[16:17], v[28:29], v[12:13]
	v_add_f64 v[10:11], v[10:11], -v[14:15]
	v_add_f64 v[14:15], v[16:17], -v[28:29]
	;; [unrolled: 1-line block ×5, first 2 shown]
	v_add_f64 v[14:15], v[34:35], v[10:11]
	v_add_f64 v[12:13], v[12:13], v[18:19]
	v_add_f64 v[20:21], v[14:15], -v[34:35]
	v_add_f64 v[12:13], v[14:15], v[12:13]
	v_add_f64 v[18:19], v[14:15], -v[20:21]
	;; [unrolled: 2-line block ×3, first 2 shown]
	v_add_f64 v[18:19], v[34:35], -v[18:19]
	v_add_f64 v[16:17], v[14:15], -v[16:17]
	v_add_f64 v[10:11], v[10:11], v[18:19]
	v_add_f64 v[12:13], v[12:13], -v[16:17]
	v_add_f64 v[10:11], v[10:11], v[12:13]
	v_add_f64 v[12:13], v[14:15], v[10:11]
	v_add_f64 v[14:15], v[12:13], -v[14:15]
	v_mul_f64 v[16:17], v[6:7], v[12:13]
	v_add_f64 v[10:11], v[10:11], -v[14:15]
	v_fma_f64 v[12:13], v[6:7], v[12:13], -v[16:17]
	v_fmac_f64_e32 v[12:13], v[6:7], v[10:11]
	v_add_f64 v[10:11], v[16:17], v[12:13]
	v_add_f64 v[14:15], v[10:11], -v[16:17]
	v_cmp_class_f64_e64 vcc, v[16:17], s30
	s_mov_b32 s2, 0
	v_add_f64 v[14:15], v[12:13], -v[14:15]
	v_cndmask_b32_e32 v13, v11, v17, vcc
	v_cndmask_b32_e32 v12, v10, v16, vcc
	s_mov_b32 s3, 0x7ff00000
	v_cmp_neq_f64_e64 vcc, |v[12:13]|, s[2:3]
	s_mov_b32 s2, 0x652b82fe
	s_mov_b32 s3, 0x3ff71547
	v_cndmask_b32_e32 v11, 0, v15, vcc
	v_cndmask_b32_e32 v10, 0, v14, vcc
	v_mul_f64 v[14:15], v[12:13], s[2:3]
	v_rndne_f64_e32 v[14:15], v[14:15]
	s_mov_b32 s29, 0xbfe62e42
	v_fma_f64 v[16:17], s[28:29], v[14:15], v[12:13]
	s_mov_b32 s35, 0xbc7abc9e
	s_mov_b32 s2, 0x6a5dcb37
	v_fmac_f64_e32 v[16:17], s[34:35], v[14:15]
	v_mov_b32_e32 v18, 0xfca7ab0c
	v_mov_b32_e32 v19, 0x3e928af3
	s_mov_b32 s3, 0x3e5ade15
	v_fmac_f64_e32 v[18:19], s[2:3], v[16:17]
	v_mov_b32_e32 v20, 0x623fde64
	v_mov_b32_e32 v21, 0x3ec71dee
	v_fmac_f64_e32 v[20:21], v[16:17], v[18:19]
	v_mov_b32_e32 v18, 0x7c89e6b0
	v_mov_b32_e32 v19, 0x3efa0199
	;; [unrolled: 3-line block ×8, first 2 shown]
	s_mov_b32 s2, 0
	v_fmac_f64_e32 v[18:19], v[16:17], v[20:21]
	s_mov_b32 s3, 0x40900000
	v_fma_f64 v[18:19], v[16:17], v[18:19], 1.0
	v_cmp_nlt_f64_e32 vcc, s[2:3], v[12:13]
	s_mov_b32 s2, 0
	v_fma_f64 v[16:17], v[16:17], v[18:19], 1.0
	v_lshl_add_u64 v[18:19], s[54:55], 0, v[4:5]
	s_mov_b32 s3, 0xc090cc00
	v_cmp_ngt_f64_e64 s[2:3], s[2:3], v[12:13]
	global_load_dwordx2 v[12:13], v[18:19], off
	v_cvt_i32_f64_e32 v9, v[14:15]
	v_ldexp_f64 v[14:15], v[16:17], v9
	v_mov_b32_e32 v36, 0x7ff00000
	v_cndmask_b32_e32 v9, v36, v15, vcc
	s_and_b64 vcc, s[2:3], vcc
	v_cndmask_b32_e64 v15, 0, v9, s[2:3]
	v_cndmask_b32_e32 v14, 0, v14, vcc
	v_mov_b64_e32 v[16:17], v[14:15]
	v_fmac_f64_e32 v[16:17], v[16:17], v[10:11]
	v_cmp_class_f64_e64 vcc, v[14:15], s30
	v_trunc_f64_e32 v[10:11], v[6:7]
	s_load_dwordx16 s[68:83], s[0:1], 0x118
	v_cndmask_b32_e32 v37, v16, v14, vcc
	v_cndmask_b32_e32 v9, v17, v15, vcc
	v_cmp_eq_f64_e32 vcc, v[10:11], v[6:7]
	v_mul_f64 v[6:7], v[6:7], 0.5
	v_trunc_f64_e32 v[10:11], v[6:7]
	v_cmp_neq_f64_e64 s[2:3], v[10:11], v[6:7]
	s_and_b64 s[2:3], vcc, s[2:3]
	v_lshl_add_u64 v[6:7], s[56:57], 0, v[4:5]
	v_cndmask_b32_e64 v3, v3, v1, s[2:3]
	v_bfi_b32 v3, s33, v9, v3
	v_ashrrev_i32_e32 v9, 31, v8
	v_lshlrev_b64 v[40:41], 3, v[8:9]
	v_lshl_add_u64 v[60:61], s[46:47], 0, v[40:41]
	global_load_dwordx2 v[94:95], v[60:61], off
	v_lshl_add_u64 v[58:59], s[48:49], 0, v[40:41]
	global_load_dwordx2 v[96:97], v[58:59], off
	;; [unrolled: 2-line block ×15, first 2 shown]
	s_waitcnt lgkmcnt(0)
	v_lshl_add_u64 v[14:15], s[84:85], 0, v[40:41]
	global_load_dwordx2 v[74:75], v[14:15], off
	v_lshl_add_u64 v[8:9], s[86:87], 0, v[40:41]
	global_load_dwordx2 v[20:21], v[6:7], off
	global_load_dwordx2 v[76:77], v[8:9], off
	v_lshl_add_u64 v[6:7], s[88:89], 0, v[40:41]
	global_load_dwordx2 v[78:79], v[6:7], off
	v_cndmask_b32_e32 v10, v90, v3, vcc
	v_cndmask_b32_e32 v11, 0, v37, vcc
	v_cmp_gt_f64_e32 vcc, 0, v[0:1]
	v_cmp_class_f64_e64 s[28:29], v[0:1], s30
	s_waitcnt vmcnt(19)
	v_mul_f64 v[12:13], s[68:69], v[12:13]
	v_cndmask_b32_e32 v11, v37, v11, vcc
	v_cndmask_b32_e32 v3, v3, v10, vcc
	v_cmp_eq_f64_e32 vcc, 0, v[0:1]
	s_nop 1
	v_cndmask_b32_e64 v10, v36, 0, vcc
	v_cndmask_b32_e64 v36, 0, v1, s[2:3]
	v_bfi_b32 v10, s33, v10, v36
	s_or_b64 vcc, vcc, s[28:29]
	v_cndmask_b32_e32 v3, v3, v10, vcc
	v_cndmask_b32_e64 v10, v11, 0, vcc
	v_cmp_o_f64_e32 vcc, v[0:1], v[0:1]
	v_mul_f64 v[36:37], s[70:71], v[0:1]
	s_mov_b32 s28, 0
	v_cndmask_b32_e32 v10, 0, v10, vcc
	v_cndmask_b32_e32 v11, v90, v3, vcc
	v_add_f64 v[10:11], v[10:11], -s[72:73]
	v_fma_f64 v[10:11], v[36:37], v[10:11], -v[12:13]
	v_mov_b32_e32 v36, 0
	v_mov_b32_e32 v37, 0x40080000
	v_mul_f64 v[36:37], s[74:75], v[36:37]
	v_mul_f64 v[36:37], v[36:37], v[10:11]
	;; [unrolled: 1-line block ×3, first 2 shown]
	v_fma_f64 v[36:37], s[78:79], v[64:65], -v[36:37]
	v_lshl_add_u64 v[12:13], s[58:59], 0, v[4:5]
	v_lshl_add_u64 v[4:5], s[60:61], 0, v[4:5]
	v_fmac_f64_e32 v[36:37], s[76:77], v[0:1]
	global_load_dwordx2 v[12:13], v[12:13], off
	s_mov_b32 s29, 0xc0180000
	global_load_dwordx2 v[90:91], v[4:5], off
	v_lshl_add_u64 v[4:5], s[64:65], 0, v[40:41]
	global_store_dwordx2 v[52:53], v[36:37], off
	global_load_dwordx2 v[98:99], v[4:5], off
	s_waitcnt vmcnt(22)
	v_add_f64 v[36:37], v[92:93], v[94:95]
	s_waitcnt vmcnt(21)
	v_add_f64 v[36:37], v[36:37], v[96:97]
	;; [unrolled: 2-line block ×9, first 2 shown]
	v_add_f64 v[92:93], v[94:95], -v[96:97]
	s_waitcnt vmcnt(13)
	v_add_f64 v[36:37], v[36:37], v[88:89]
	v_add_f64 v[34:35], v[34:35], -v[44:45]
	s_waitcnt vmcnt(12)
	v_add_f64 v[36:37], v[36:37], v[48:49]
	v_add_f64 v[34:35], v[34:35], v[48:49]
	s_waitcnt vmcnt(11)
	v_add_f64 v[36:37], v[36:37], v[66:67]
	v_add_f64 v[34:35], v[34:35], -v[66:67]
	s_waitcnt vmcnt(10)
	v_add_f64 v[36:37], v[36:37], v[68:69]
	v_add_f64 v[34:35], v[34:35], -v[68:69]
	s_waitcnt vmcnt(9)
	v_add_f64 v[36:37], v[36:37], v[70:71]
	v_add_f64 v[34:35], v[34:35], v[70:71]
	s_waitcnt vmcnt(8)
	v_add_f64 v[36:37], v[36:37], v[72:73]
	v_add_f64 v[34:35], v[34:35], v[72:73]
	s_waitcnt vmcnt(7)
	v_add_f64 v[36:37], v[36:37], v[74:75]
	v_add_f64 v[34:35], v[34:35], -v[74:75]
	s_waitcnt vmcnt(6)
	v_mul_f64 v[64:65], v[20:21], v[10:11]
	s_waitcnt vmcnt(5)
	v_add_f64 v[36:37], v[36:37], v[76:77]
	v_add_f64 v[34:35], v[34:35], -v[76:77]
	s_waitcnt vmcnt(4)
	v_add_f64 v[52:53], v[36:37], v[78:79]
	v_add_f64 v[36:37], v[92:93], v[82:83]
	v_add_f64 v[36:37], v[36:37], -v[84:85]
	v_add_f64 v[36:37], v[36:37], v[86:87]
	v_add_f64 v[36:37], v[36:37], -v[88:89]
	v_add_f64 v[36:37], v[36:37], v[48:49]
	v_add_f64 v[36:37], v[36:37], -v[66:67]
	v_add_f64 v[36:37], v[36:37], v[68:69]
	v_add_f64 v[36:37], v[36:37], -v[70:71]
	v_fmac_f64_e32 v[36:37], 0.5, v[64:65]
	v_div_scale_f64 v[92:93], s[2:3], v[52:53], v[52:53], v[36:37]
	v_rcp_f64_e32 v[94:95], v[92:93]
	v_add_f64 v[44:45], v[34:35], v[78:79]
	v_lshl_add_u64 v[68:69], s[42:43], 0, v[40:41]
	v_fma_f64 v[96:97], -v[92:93], v[94:95], 1.0
	v_fmac_f64_e32 v[94:95], v[94:95], v[96:97]
	v_fma_f64 v[96:97], -v[92:93], v[94:95], 1.0
	v_fmac_f64_e32 v[94:95], v[94:95], v[96:97]
	v_div_scale_f64 v[96:97], vcc, v[36:37], v[52:53], v[36:37]
	v_mul_f64 v[100:101], v[96:97], v[94:95]
	v_fma_f64 v[92:93], -v[92:93], v[100:101], v[96:97]
	v_mul_f64 v[96:97], s[74:75], 0.5
	s_nop 0
	v_div_fmas_f64 v[92:93], v[92:93], v[94:95], v[100:101]
	v_mov_b32_e32 v94, s80
	v_div_fixup_f64 v[36:37], v[92:93], v[52:53], v[36:37]
	v_mov_b32_e32 v95, s81
	v_mul_f64 v[92:93], v[96:97], v[10:11]
	v_mul_f64 v[92:93], s[76:77], v[92:93]
	;; [unrolled: 1-line block ×4, first 2 shown]
	s_waitcnt vmcnt(2)
	v_mul_f64 v[34:35], v[90:91], v[10:11]
	v_fmac_f64_e32 v[44:45], 0.5, v[34:35]
	v_div_scale_f64 v[48:49], s[2:3], v[52:53], v[52:53], v[44:45]
	s_waitcnt vmcnt(0)
	v_fma_f64 v[96:97], s[78:79], v[98:99], v[92:93]
	v_fmac_f64_e32 v[96:97], v[94:95], v[36:37]
	global_store_dwordx2 v[4:5], v[96:97], off
	v_lshl_add_u64 v[4:5], s[66:67], 0, v[40:41]
	global_load_dwordx2 v[96:97], v[4:5], off
	v_rcp_f64_e32 v[66:67], v[48:49]
	s_waitcnt vmcnt(0)
	v_fma_f64 v[96:97], s[78:79], v[96:97], v[92:93]
	v_fma_f64 v[96:97], -v[94:95], v[36:37], v[96:97]
	global_store_dwordx2 v[4:5], v[96:97], off
	v_lshl_add_u64 v[96:97], s[36:37], 0, v[40:41]
	global_load_dwordx2 v[98:99], v[96:97], off
	v_add_f64 v[4:5], v[56:57], -v[80:81]
	v_add_f64 v[4:5], v[4:5], v[82:83]
	v_add_f64 v[4:5], v[4:5], -v[84:85]
	v_add_f64 v[4:5], v[4:5], -v[86:87]
	v_add_f64 v[4:5], v[4:5], v[88:89]
	v_add_f64 v[4:5], v[4:5], v[72:73]
	v_add_f64 v[4:5], v[4:5], -v[74:75]
	v_add_f64 v[4:5], v[4:5], v[76:77]
	v_add_f64 v[4:5], v[4:5], -v[78:79]
	v_mul_f64 v[56:57], v[12:13], v[10:11]
	v_fmac_f64_e32 v[4:5], 0.5, v[56:57]
	v_div_scale_f64 v[80:81], s[2:3], v[52:53], v[52:53], v[4:5]
	v_rcp_f64_e32 v[82:83], v[80:81]
	v_div_scale_f64 v[86:87], vcc, v[4:5], v[52:53], v[4:5]
	v_lshl_add_u64 v[84:85], s[38:39], 0, v[40:41]
	v_fma_f64 v[88:89], -v[80:81], v[82:83], 1.0
	v_fmac_f64_e32 v[82:83], v[82:83], v[88:89]
	v_fma_f64 v[88:89], -v[80:81], v[82:83], 1.0
	v_fmac_f64_e32 v[82:83], v[82:83], v[88:89]
	v_mul_f64 v[88:89], v[86:87], v[82:83]
	v_fma_f64 v[80:81], -v[80:81], v[88:89], v[86:87]
	v_div_fmas_f64 v[80:81], v[80:81], v[82:83], v[88:89]
	v_div_fixup_f64 v[4:5], v[80:81], v[52:53], v[4:5]
	v_lshl_add_u64 v[82:83], s[40:41], 0, v[40:41]
	v_fma_f64 v[70:71], -v[48:49], v[66:67], 1.0
	v_fmac_f64_e32 v[66:67], v[66:67], v[70:71]
	v_fma_f64 v[70:71], -v[48:49], v[66:67], 1.0
	v_div_scale_f64 v[40:41], vcc, v[44:45], v[52:53], v[44:45]
	v_fmac_f64_e32 v[66:67], v[66:67], v[70:71]
	v_mul_f64 v[70:71], v[40:41], v[66:67]
	v_fma_f64 v[40:41], -v[48:49], v[70:71], v[40:41]
	s_nop 0
	v_div_fmas_f64 v[40:41], v[40:41], v[66:67], v[70:71]
	v_div_fixup_f64 v[40:41], v[40:41], v[52:53], v[44:45]
	s_load_dwordx8 s[36:43], s[0:1], 0x160
	v_mul_f64 v[48:49], v[4:5], v[4:5]
	s_mov_b32 s2, 0
	v_fmac_f64_e32 v[48:49], v[36:37], v[36:37]
	s_mov_b32 s3, 0x3ff80000
	v_fmac_f64_e32 v[48:49], v[40:41], v[40:41]
	v_mul_f64 v[48:49], v[48:49], s[2:3]
	s_load_dwordx4 s[0:3], s[0:1], 0x180
	s_waitcnt lgkmcnt(0)
	v_mul_f64 v[70:71], s[36:37], v[52:53]
	v_mul_f64 v[74:75], v[36:37], 0.5
	v_fma_f64 v[74:75], v[36:37], v[74:75], -v[48:49]
	s_waitcnt vmcnt(0)
	v_fma_f64 v[80:81], s[78:79], v[98:99], v[92:93]
	v_fmac_f64_e32 v[80:81], v[94:95], v[4:5]
	global_store_dwordx2 v[96:97], v[80:81], off
	global_load_dwordx2 v[80:81], v[84:85], off
	s_waitcnt vmcnt(0)
	v_fma_f64 v[80:81], s[78:79], v[80:81], v[92:93]
	v_fma_f64 v[80:81], -v[94:95], v[4:5], v[80:81]
	global_store_dwordx2 v[84:85], v[80:81], off
	global_load_dwordx2 v[80:81], v[82:83], off
	s_waitcnt vmcnt(0)
	v_fma_f64 v[44:45], s[78:79], v[80:81], v[92:93]
	v_fmac_f64_e32 v[44:45], v[94:95], v[40:41]
	global_store_dwordx2 v[82:83], v[44:45], off
	global_load_dwordx2 v[44:45], v[68:69], off
	s_waitcnt vmcnt(0)
	v_fmac_f64_e32 v[92:93], s[78:79], v[44:45]
	v_fma_f64 v[44:45], -v[94:95], v[40:41], v[92:93]
	global_store_dwordx2 v[68:69], v[44:45], off
	global_load_dwordx2 v[66:67], v[62:63], off
	v_mul_f64 v[44:45], v[0:1], s[28:29]
	v_fma_f64 v[68:69], v[44:45], v[10:11], v[52:53]
	v_mul_f64 v[44:45], v[56:57], v[4:5]
	v_fma_f64 v[68:69], -v[52:53], v[48:49], v[68:69]
	v_fmac_f64_e32 v[44:45], v[64:65], v[36:37]
	v_mul_f64 v[68:69], s[40:41], v[68:69]
	v_fmac_f64_e32 v[44:45], v[34:35], v[40:41]
	s_mov_b32 s28, 0
	s_mov_b32 s29, 0x40080000
	v_mul_f64 v[0:1], v[0:1], s[28:29]
	s_waitcnt vmcnt(0)
	v_fmac_f64_e32 v[68:69], s[82:83], v[66:67]
	v_fma_f64 v[66:67], -s[42:43], v[44:45], v[68:69]
	global_store_dwordx2 v[62:63], v[66:67], off
	global_load_dwordx2 v[62:63], v[60:61], off
	v_fma_f64 v[60:61], v[0:1], v[10:11], v[52:53]
	v_mul_f64 v[72:73], s[36:37], v[60:61]
	v_mul_f64 v[0:1], v[70:71], v[36:37]
	v_add_u32_e32 v66, s94, v2
	v_fmac_f64_e32 v[0:1], s[0:1], v[64:65]
	v_fma_f64 v[64:65], v[64:65], v[36:37], -v[44:45]
	v_fma_f64 v[74:75], v[70:71], v[74:75], v[72:73]
	v_ashrrev_i32_e32 v67, 31, v66
	v_fmac_f64_e32 v[74:75], s[0:1], v[64:65]
	v_lshlrev_b64 v[2:3], 3, v[66:67]
	v_lshl_add_u64 v[68:69], s[46:47], 0, v[2:3]
	v_lshl_add_u64 v[2:3], s[48:49], 0, v[2:3]
	v_mul_f64 v[64:65], v[70:71], v[4:5]
	v_fmac_f64_e32 v[64:65], s[0:1], v[56:57]
	s_waitcnt vmcnt(0)
	v_fma_f64 v[62:63], s[82:83], v[62:63], v[74:75]
	v_add_f64 v[62:63], v[0:1], v[62:63]
	global_store_dwordx2 v[68:69], v[62:63], off offset:8
	global_load_dwordx2 v[58:59], v[58:59], off
	v_mul_f64 v[62:63], v[4:5], 0.5
	v_fma_f64 v[62:63], v[4:5], v[62:63], -v[48:49]
	v_fma_f64 v[68:69], v[56:57], v[4:5], -v[44:45]
	v_fma_f64 v[62:63], v[70:71], v[62:63], v[72:73]
	v_fmac_f64_e32 v[62:63], s[0:1], v[68:69]
	s_waitcnt vmcnt(0)
	v_fmac_f64_e32 v[74:75], s[82:83], v[58:59]
	v_add_f64 v[0:1], v[74:75], -v[0:1]
	global_store_dwordx2 v[2:3], v[0:1], off offset:-8
	global_load_dwordx2 v[2:3], v[54:55], off
	v_add_u32_e32 v0, s31, v66
	v_ashrrev_i32_e32 v1, 31, v0
	v_lshlrev_b64 v[54:55], 3, v[0:1]
	v_lshl_add_u64 v[58:59], s[50:51], 0, v[54:55]
	v_fma_f64 v[74:75], v[34:35], v[40:41], -v[44:45]
	s_waitcnt vmcnt(0)
	v_fma_f64 v[2:3], s[82:83], v[2:3], v[62:63]
	v_add_f64 v[2:3], v[64:65], v[2:3]
	global_store_dwordx2 v[58:59], v[2:3], off
	global_load_dwordx2 v[50:51], v[50:51], off
	v_subrev_u32_e32 v2, s31, v66
	v_ashrrev_i32_e32 v3, 31, v2
	v_lshlrev_b64 v[58:59], 3, v[2:3]
	v_lshl_add_u64 v[68:69], s[4:5], 0, v[58:59]
	s_mul_i32 s4, s92, s31
	s_waitcnt vmcnt(0)
	v_fmac_f64_e32 v[62:63], s[82:83], v[50:51]
	v_add_f64 v[50:51], v[62:63], -v[64:65]
	global_store_dwordx2 v[68:69], v[50:51], off
	global_load_dwordx2 v[50:51], v[46:47], off
	v_mul_f64 v[64:65], v[40:41], 0.5
	v_fma_f64 v[64:65], v[40:41], v[64:65], -v[48:49]
	v_add_u32_e32 v46, s4, v66
	v_fmac_f64_e32 v[72:73], v[70:71], v[64:65]
	v_ashrrev_i32_e32 v47, 31, v46
	v_mul_f64 v[68:69], v[70:71], v[40:41]
	v_fmac_f64_e32 v[72:73], s[0:1], v[74:75]
	v_lshlrev_b64 v[46:47], 3, v[46:47]
	v_fmac_f64_e32 v[68:69], s[0:1], v[34:35]
	v_lshl_add_u64 v[62:63], s[6:7], 0, v[46:47]
	v_lshl_add_u64 v[64:65], s[10:11], 0, v[54:55]
	s_waitcnt vmcnt(0)
	v_fma_f64 v[50:51], s[82:83], v[50:51], v[72:73]
	v_add_f64 v[50:51], v[68:69], v[50:51]
	global_store_dwordx2 v[62:63], v[50:51], off
	global_load_dwordx2 v[42:43], v[42:43], off
	v_subrev_u32_e32 v50, s4, v66
	v_ashrrev_i32_e32 v51, 31, v50
	v_lshlrev_b64 v[50:51], 3, v[50:51]
	v_lshl_add_u64 v[62:63], s[8:9], 0, v[50:51]
	s_waitcnt vmcnt(0)
	v_fmac_f64_e32 v[72:73], s[82:83], v[42:43]
	v_add_f64 v[42:43], v[72:73], -v[68:69]
	global_store_dwordx2 v[62:63], v[42:43], off
	global_load_dwordx2 v[62:63], v[38:39], off
	v_mul_f64 v[42:43], s[38:39], v[52:53]
	v_mul_f64 v[38:39], s[38:39], v[60:61]
	v_add_f64 v[60:61], v[36:37], v[4:5]
	v_fma_f64 v[52:53], v[20:21], v[10:11], v[56:57]
	v_mul_f64 v[66:67], v[42:43], v[60:61]
	v_mul_f64 v[68:69], v[60:61], 0.5
	v_fmac_f64_e32 v[66:67], s[2:3], v[52:53]
	v_fma_f64 v[52:53], v[52:53], v[60:61], -v[44:45]
	v_fma_f64 v[60:61], v[60:61], v[68:69], -v[48:49]
	v_fma_f64 v[60:61], v[42:43], v[60:61], v[38:39]
	v_fmac_f64_e32 v[60:61], s[2:3], v[52:53]
	s_waitcnt vmcnt(0)
	v_fma_f64 v[52:53], s[82:83], v[62:63], v[60:61]
	v_add_f64 v[52:53], v[66:67], v[52:53]
	global_store_dwordx2 v[64:65], v[52:53], off offset:8
	global_load_dwordx2 v[32:33], v[32:33], off
	v_lshl_add_u64 v[52:53], s[12:13], 0, v[58:59]
	s_waitcnt vmcnt(0)
	v_fmac_f64_e32 v[60:61], s[82:83], v[32:33]
	v_add_f64 v[32:33], v[60:61], -v[66:67]
	global_store_dwordx2 v[52:53], v[32:33], off offset:-8
	global_load_dwordx2 v[30:31], v[30:31], off
	v_fma_f64 v[52:53], v[20:21], v[10:11], -v[56:57]
	v_add_f64 v[56:57], v[36:37], -v[4:5]
	v_lshl_add_u64 v[32:33], s[14:15], 0, v[58:59]
	v_mul_f64 v[58:59], v[42:43], v[56:57]
	v_mul_f64 v[60:61], v[56:57], 0.5
	v_fmac_f64_e32 v[58:59], s[2:3], v[52:53]
	v_fma_f64 v[52:53], v[52:53], v[56:57], -v[44:45]
	v_fma_f64 v[56:57], v[56:57], v[60:61], -v[48:49]
	v_fma_f64 v[56:57], v[42:43], v[56:57], v[38:39]
	v_fmac_f64_e32 v[56:57], s[2:3], v[52:53]
	s_waitcnt vmcnt(0)
	v_fma_f64 v[30:31], s[82:83], v[30:31], v[56:57]
	v_add_f64 v[30:31], v[58:59], v[30:31]
	global_store_dwordx2 v[32:33], v[30:31], off offset:8
	global_load_dwordx2 v[28:29], v[28:29], off
	v_lshl_add_u64 v[30:31], s[16:17], 0, v[54:55]
	v_add_f64 v[32:33], v[36:37], v[40:41]
	v_mul_f64 v[52:53], v[32:33], 0.5
	v_mul_f64 v[54:55], v[42:43], v[32:33]
	s_waitcnt vmcnt(0)
	v_fmac_f64_e32 v[56:57], s[82:83], v[28:29]
	v_add_f64 v[28:29], v[56:57], -v[58:59]
	global_store_dwordx2 v[30:31], v[28:29], off offset:-8
	global_load_dwordx2 v[26:27], v[26:27], off
	v_fma_f64 v[30:31], v[20:21], v[10:11], v[34:35]
	v_fma_f64 v[56:57], v[30:31], v[32:33], -v[44:45]
	v_fmac_f64_e32 v[54:55], s[2:3], v[30:31]
	v_fma_f64 v[30:31], v[32:33], v[52:53], -v[48:49]
	v_fma_f64 v[30:31], v[42:43], v[30:31], v[38:39]
	v_fmac_f64_e32 v[30:31], s[2:3], v[56:57]
	v_lshl_add_u64 v[28:29], s[18:19], 0, v[46:47]
	v_fma_f64 v[20:21], v[20:21], v[10:11], -v[34:35]
	s_waitcnt vmcnt(0)
	v_fma_f64 v[26:27], s[82:83], v[26:27], v[30:31]
	v_add_f64 v[26:27], v[54:55], v[26:27]
	global_store_dwordx2 v[28:29], v[26:27], off offset:8
	global_load_dwordx2 v[24:25], v[24:25], off
	v_lshl_add_u64 v[26:27], s[20:21], 0, v[50:51]
	s_waitcnt vmcnt(0)
	v_fmac_f64_e32 v[30:31], s[82:83], v[24:25]
	v_add_f64 v[24:25], v[30:31], -v[54:55]
	global_store_dwordx2 v[26:27], v[24:25], off offset:-8
	global_load_dwordx2 v[22:23], v[22:23], off
	v_add_f64 v[26:27], v[36:37], -v[40:41]
	v_mul_f64 v[28:29], v[26:27], 0.5
	v_mul_f64 v[30:31], v[42:43], v[26:27]
	v_fma_f64 v[32:33], v[20:21], v[26:27], -v[44:45]
	v_fmac_f64_e32 v[30:31], s[2:3], v[20:21]
	v_fma_f64 v[20:21], v[26:27], v[28:29], -v[48:49]
	v_fma_f64 v[20:21], v[42:43], v[20:21], v[38:39]
	v_fmac_f64_e32 v[20:21], s[2:3], v[32:33]
	v_lshl_add_u64 v[24:25], s[22:23], 0, v[50:51]
	s_waitcnt vmcnt(0)
	v_fma_f64 v[22:23], s[82:83], v[22:23], v[20:21]
	v_add_f64 v[22:23], v[30:31], v[22:23]
	global_store_dwordx2 v[24:25], v[22:23], off offset:8
	global_load_dwordx2 v[18:19], v[18:19], off
	v_lshl_add_u64 v[22:23], s[24:25], 0, v[46:47]
	s_waitcnt vmcnt(0)
	v_fmac_f64_e32 v[20:21], s[82:83], v[18:19]
	v_add_f64 v[18:19], v[20:21], -v[30:31]
	global_store_dwordx2 v[22:23], v[18:19], off offset:-8
	global_load_dwordx2 v[16:17], v[16:17], off
	v_add_f64 v[22:23], v[4:5], v[40:41]
	v_fma_f64 v[20:21], v[12:13], v[10:11], v[34:35]
	v_mul_f64 v[24:25], v[22:23], 0.5
	v_mul_f64 v[26:27], v[42:43], v[22:23]
	v_fma_f64 v[28:29], v[20:21], v[22:23], -v[44:45]
	v_fmac_f64_e32 v[26:27], s[2:3], v[20:21]
	v_fma_f64 v[20:21], v[22:23], v[24:25], -v[48:49]
	v_fma_f64 v[20:21], v[42:43], v[20:21], v[38:39]
	v_add_u32_e32 v18, s4, v0
	v_fmac_f64_e32 v[20:21], s[2:3], v[28:29]
	v_ashrrev_i32_e32 v19, 31, v18
	v_lshl_add_u64 v[18:19], v[18:19], 3, s[26:27]
	v_add_f64 v[4:5], v[4:5], -v[40:41]
	v_fma_f64 v[10:11], v[12:13], v[10:11], -v[34:35]
	v_mul_f64 v[12:13], v[4:5], 0.5
	v_subrev_u32_e32 v0, s4, v0
	v_ashrrev_i32_e32 v1, 31, v0
	v_lshl_add_u64 v[0:1], v[0:1], 3, s[86:87]
	s_waitcnt vmcnt(0)
	v_fma_f64 v[16:17], s[82:83], v[16:17], v[20:21]
	v_add_f64 v[16:17], v[26:27], v[16:17]
	global_store_dwordx2 v[18:19], v[16:17], off
	global_load_dwordx2 v[14:15], v[14:15], off
	v_subrev_u32_e32 v16, s4, v2
	v_ashrrev_i32_e32 v17, 31, v16
	v_lshl_add_u64 v[16:17], v[16:17], 3, s[84:85]
	v_add_u32_e32 v2, s4, v2
	v_ashrrev_i32_e32 v3, 31, v2
	v_lshl_add_u64 v[2:3], v[2:3], 3, s[88:89]
	s_waitcnt vmcnt(0)
	v_fmac_f64_e32 v[20:21], s[82:83], v[14:15]
	v_add_f64 v[14:15], v[20:21], -v[26:27]
	global_store_dwordx2 v[16:17], v[14:15], off
	global_load_dwordx2 v[8:9], v[8:9], off
	v_mul_f64 v[14:15], v[42:43], v[4:5]
	v_fma_f64 v[16:17], v[10:11], v[4:5], -v[44:45]
	v_fma_f64 v[4:5], v[4:5], v[12:13], -v[48:49]
	v_fmac_f64_e32 v[38:39], v[42:43], v[4:5]
	v_fmac_f64_e32 v[38:39], s[2:3], v[16:17]
	;; [unrolled: 1-line block ×3, first 2 shown]
	s_waitcnt vmcnt(0)
	v_fma_f64 v[4:5], s[82:83], v[8:9], v[38:39]
	v_add_f64 v[4:5], v[14:15], v[4:5]
	global_store_dwordx2 v[0:1], v[4:5], off
	global_load_dwordx2 v[0:1], v[6:7], off
	s_waitcnt vmcnt(0)
	v_fmac_f64_e32 v[38:39], s[82:83], v[0:1]
	v_add_f64 v[0:1], v[38:39], -v[14:15]
	global_store_dwordx2 v[2:3], v[0:1], off
.LBB0_2:
	s_endpgm
	.section	.rodata,"a",@progbits
	.p2align	6, 0x0
	.amdhsa_kernel _Z6kernelPdS_S_S_S_S_S_S_S_S_S_S_S_S_S_S_S_S_S_S_S_S_S_S_S_S_S_S_S_S_S_iiiiiiiddddddddddddddd
		.amdhsa_group_segment_fixed_size 0
		.amdhsa_private_segment_fixed_size 0
		.amdhsa_kernarg_size 656
		.amdhsa_user_sgpr_count 2
		.amdhsa_user_sgpr_dispatch_ptr 0
		.amdhsa_user_sgpr_queue_ptr 0
		.amdhsa_user_sgpr_kernarg_segment_ptr 1
		.amdhsa_user_sgpr_dispatch_id 0
		.amdhsa_user_sgpr_kernarg_preload_length 0
		.amdhsa_user_sgpr_kernarg_preload_offset 0
		.amdhsa_user_sgpr_private_segment_size 0
		.amdhsa_uses_dynamic_stack 0
		.amdhsa_enable_private_segment 0
		.amdhsa_system_sgpr_workgroup_id_x 1
		.amdhsa_system_sgpr_workgroup_id_y 1
		.amdhsa_system_sgpr_workgroup_id_z 1
		.amdhsa_system_sgpr_workgroup_info 0
		.amdhsa_system_vgpr_workitem_id 2
		.amdhsa_next_free_vgpr 102
		.amdhsa_next_free_sgpr 96
		.amdhsa_accum_offset 104
		.amdhsa_reserve_vcc 1
		.amdhsa_float_round_mode_32 0
		.amdhsa_float_round_mode_16_64 0
		.amdhsa_float_denorm_mode_32 3
		.amdhsa_float_denorm_mode_16_64 3
		.amdhsa_dx10_clamp 1
		.amdhsa_ieee_mode 1
		.amdhsa_fp16_overflow 0
		.amdhsa_tg_split 0
		.amdhsa_exception_fp_ieee_invalid_op 0
		.amdhsa_exception_fp_denorm_src 0
		.amdhsa_exception_fp_ieee_div_zero 0
		.amdhsa_exception_fp_ieee_overflow 0
		.amdhsa_exception_fp_ieee_underflow 0
		.amdhsa_exception_fp_ieee_inexact 0
		.amdhsa_exception_int_div_zero 0
	.end_amdhsa_kernel
	.text
.Lfunc_end0:
	.size	_Z6kernelPdS_S_S_S_S_S_S_S_S_S_S_S_S_S_S_S_S_S_S_S_S_S_S_S_S_S_S_S_S_S_iiiiiiiddddddddddddddd, .Lfunc_end0-_Z6kernelPdS_S_S_S_S_S_S_S_S_S_S_S_S_S_S_S_S_S_S_S_S_S_S_S_S_S_S_S_S_S_iiiiiiiddddddddddddddd
                                        ; -- End function
	.set _Z6kernelPdS_S_S_S_S_S_S_S_S_S_S_S_S_S_S_S_S_S_S_S_S_S_S_S_S_S_S_S_S_S_iiiiiiiddddddddddddddd.num_vgpr, 102
	.set _Z6kernelPdS_S_S_S_S_S_S_S_S_S_S_S_S_S_S_S_S_S_S_S_S_S_S_S_S_S_S_S_S_S_iiiiiiiddddddddddddddd.num_agpr, 0
	.set _Z6kernelPdS_S_S_S_S_S_S_S_S_S_S_S_S_S_S_S_S_S_S_S_S_S_S_S_S_S_S_S_S_S_iiiiiiiddddddddddddddd.numbered_sgpr, 96
	.set _Z6kernelPdS_S_S_S_S_S_S_S_S_S_S_S_S_S_S_S_S_S_S_S_S_S_S_S_S_S_S_S_S_S_iiiiiiiddddddddddddddd.num_named_barrier, 0
	.set _Z6kernelPdS_S_S_S_S_S_S_S_S_S_S_S_S_S_S_S_S_S_S_S_S_S_S_S_S_S_S_S_S_S_iiiiiiiddddddddddddddd.private_seg_size, 0
	.set _Z6kernelPdS_S_S_S_S_S_S_S_S_S_S_S_S_S_S_S_S_S_S_S_S_S_S_S_S_S_S_S_S_S_iiiiiiiddddddddddddddd.uses_vcc, 1
	.set _Z6kernelPdS_S_S_S_S_S_S_S_S_S_S_S_S_S_S_S_S_S_S_S_S_S_S_S_S_S_S_S_S_S_iiiiiiiddddddddddddddd.uses_flat_scratch, 0
	.set _Z6kernelPdS_S_S_S_S_S_S_S_S_S_S_S_S_S_S_S_S_S_S_S_S_S_S_S_S_S_S_S_S_S_iiiiiiiddddddddddddddd.has_dyn_sized_stack, 0
	.set _Z6kernelPdS_S_S_S_S_S_S_S_S_S_S_S_S_S_S_S_S_S_S_S_S_S_S_S_S_S_S_S_S_S_iiiiiiiddddddddddddddd.has_recursion, 0
	.set _Z6kernelPdS_S_S_S_S_S_S_S_S_S_S_S_S_S_S_S_S_S_S_S_S_S_S_S_S_S_S_S_S_S_iiiiiiiddddddddddddddd.has_indirect_call, 0
	.section	.AMDGPU.csdata,"",@progbits
; Kernel info:
; codeLenInByte = 4984
; TotalNumSgprs: 102
; NumVgprs: 102
; NumAgprs: 0
; TotalNumVgprs: 102
; ScratchSize: 0
; MemoryBound: 0
; FloatMode: 240
; IeeeMode: 1
; LDSByteSize: 0 bytes/workgroup (compile time only)
; SGPRBlocks: 12
; VGPRBlocks: 12
; NumSGPRsForWavesPerEU: 102
; NumVGPRsForWavesPerEU: 102
; AccumOffset: 104
; Occupancy: 4
; WaveLimiterHint : 1
; COMPUTE_PGM_RSRC2:SCRATCH_EN: 0
; COMPUTE_PGM_RSRC2:USER_SGPR: 2
; COMPUTE_PGM_RSRC2:TRAP_HANDLER: 0
; COMPUTE_PGM_RSRC2:TGID_X_EN: 1
; COMPUTE_PGM_RSRC2:TGID_Y_EN: 1
; COMPUTE_PGM_RSRC2:TGID_Z_EN: 1
; COMPUTE_PGM_RSRC2:TIDIG_COMP_CNT: 2
; COMPUTE_PGM_RSRC3_GFX90A:ACCUM_OFFSET: 25
; COMPUTE_PGM_RSRC3_GFX90A:TG_SPLIT: 0
	.text
	.p2alignl 6, 3212836864
	.fill 256, 4, 3212836864
	.section	.AMDGPU.gpr_maximums,"",@progbits
	.set amdgpu.max_num_vgpr, 0
	.set amdgpu.max_num_agpr, 0
	.set amdgpu.max_num_sgpr, 0
	.text
	.type	__hip_cuid_50428f41d3f4498,@object ; @__hip_cuid_50428f41d3f4498
	.section	.bss,"aw",@nobits
	.globl	__hip_cuid_50428f41d3f4498
__hip_cuid_50428f41d3f4498:
	.byte	0                               ; 0x0
	.size	__hip_cuid_50428f41d3f4498, 1

	.ident	"AMD clang version 22.0.0git (https://github.com/RadeonOpenCompute/llvm-project roc-7.2.4 26084 f58b06dce1f9c15707c5f808fd002e18c2accf7e)"
	.section	".note.GNU-stack","",@progbits
	.addrsig
	.addrsig_sym __hip_cuid_50428f41d3f4498
	.amdgpu_metadata
---
amdhsa.kernels:
  - .agpr_count:     0
    .args:
      - .address_space:  global
        .offset:         0
        .size:           8
        .value_kind:     global_buffer
      - .address_space:  global
        .offset:         8
        .size:           8
        .value_kind:     global_buffer
      - .address_space:  global
        .offset:         16
        .size:           8
        .value_kind:     global_buffer
      - .address_space:  global
        .offset:         24
        .size:           8
        .value_kind:     global_buffer
      - .address_space:  global
        .offset:         32
        .size:           8
        .value_kind:     global_buffer
      - .address_space:  global
        .offset:         40
        .size:           8
        .value_kind:     global_buffer
      - .address_space:  global
        .offset:         48
        .size:           8
        .value_kind:     global_buffer
      - .address_space:  global
        .offset:         56
        .size:           8
        .value_kind:     global_buffer
      - .address_space:  global
        .offset:         64
        .size:           8
        .value_kind:     global_buffer
      - .address_space:  global
        .offset:         72
        .size:           8
        .value_kind:     global_buffer
      - .address_space:  global
        .offset:         80
        .size:           8
        .value_kind:     global_buffer
      - .address_space:  global
        .offset:         88
        .size:           8
        .value_kind:     global_buffer
      - .address_space:  global
        .offset:         96
        .size:           8
        .value_kind:     global_buffer
      - .address_space:  global
        .offset:         104
        .size:           8
        .value_kind:     global_buffer
      - .address_space:  global
        .offset:         112
        .size:           8
        .value_kind:     global_buffer
      - .address_space:  global
        .offset:         120
        .size:           8
        .value_kind:     global_buffer
      - .address_space:  global
        .offset:         128
        .size:           8
        .value_kind:     global_buffer
      - .address_space:  global
        .offset:         136
        .size:           8
        .value_kind:     global_buffer
      - .address_space:  global
        .offset:         144
        .size:           8
        .value_kind:     global_buffer
      - .address_space:  global
        .offset:         152
        .size:           8
        .value_kind:     global_buffer
      - .address_space:  global
        .offset:         160
        .size:           8
        .value_kind:     global_buffer
      - .address_space:  global
        .offset:         168
        .size:           8
        .value_kind:     global_buffer
      - .address_space:  global
        .offset:         176
        .size:           8
        .value_kind:     global_buffer
      - .address_space:  global
        .offset:         184
        .size:           8
        .value_kind:     global_buffer
      - .address_space:  global
        .offset:         192
        .size:           8
        .value_kind:     global_buffer
      - .address_space:  global
        .offset:         200
        .size:           8
        .value_kind:     global_buffer
      - .address_space:  global
        .offset:         208
        .size:           8
        .value_kind:     global_buffer
      - .address_space:  global
        .offset:         216
        .size:           8
        .value_kind:     global_buffer
      - .address_space:  global
        .offset:         224
        .size:           8
        .value_kind:     global_buffer
      - .address_space:  global
        .offset:         232
        .size:           8
        .value_kind:     global_buffer
      - .address_space:  global
        .offset:         240
        .size:           8
        .value_kind:     global_buffer
      - .offset:         248
        .size:           4
        .value_kind:     by_value
      - .offset:         252
        .size:           4
        .value_kind:     by_value
      - .offset:         256
        .size:           4
        .value_kind:     by_value
      - .offset:         260
        .size:           4
        .value_kind:     by_value
      - .offset:         264
        .size:           4
        .value_kind:     by_value
      - .offset:         268
        .size:           4
        .value_kind:     by_value
      - .offset:         272
        .size:           4
        .value_kind:     by_value
      - .offset:         280
        .size:           8
        .value_kind:     by_value
      - .offset:         288
        .size:           8
        .value_kind:     by_value
      - .offset:         296
        .size:           8
        .value_kind:     by_value
      - .offset:         304
        .size:           8
        .value_kind:     by_value
      - .offset:         312
        .size:           8
        .value_kind:     by_value
      - .offset:         320
        .size:           8
        .value_kind:     by_value
      - .offset:         328
        .size:           8
        .value_kind:     by_value
      - .offset:         336
        .size:           8
        .value_kind:     by_value
      - .offset:         344
        .size:           8
        .value_kind:     by_value
      - .offset:         352
        .size:           8
        .value_kind:     by_value
      - .offset:         360
        .size:           8
        .value_kind:     by_value
      - .offset:         368
        .size:           8
        .value_kind:     by_value
      - .offset:         376
        .size:           8
        .value_kind:     by_value
      - .offset:         384
        .size:           8
        .value_kind:     by_value
      - .offset:         392
        .size:           8
        .value_kind:     by_value
      - .offset:         400
        .size:           4
        .value_kind:     hidden_block_count_x
      - .offset:         404
        .size:           4
        .value_kind:     hidden_block_count_y
      - .offset:         408
        .size:           4
        .value_kind:     hidden_block_count_z
      - .offset:         412
        .size:           2
        .value_kind:     hidden_group_size_x
      - .offset:         414
        .size:           2
        .value_kind:     hidden_group_size_y
      - .offset:         416
        .size:           2
        .value_kind:     hidden_group_size_z
      - .offset:         418
        .size:           2
        .value_kind:     hidden_remainder_x
      - .offset:         420
        .size:           2
        .value_kind:     hidden_remainder_y
      - .offset:         422
        .size:           2
        .value_kind:     hidden_remainder_z
      - .offset:         440
        .size:           8
        .value_kind:     hidden_global_offset_x
      - .offset:         448
        .size:           8
        .value_kind:     hidden_global_offset_y
      - .offset:         456
        .size:           8
        .value_kind:     hidden_global_offset_z
      - .offset:         464
        .size:           2
        .value_kind:     hidden_grid_dims
    .group_segment_fixed_size: 0
    .kernarg_segment_align: 8
    .kernarg_segment_size: 656
    .language:       OpenCL C
    .language_version:
      - 2
      - 0
    .max_flat_workgroup_size: 1024
    .name:           _Z6kernelPdS_S_S_S_S_S_S_S_S_S_S_S_S_S_S_S_S_S_S_S_S_S_S_S_S_S_S_S_S_S_iiiiiiiddddddddddddddd
    .private_segment_fixed_size: 0
    .sgpr_count:     102
    .sgpr_spill_count: 0
    .symbol:         _Z6kernelPdS_S_S_S_S_S_S_S_S_S_S_S_S_S_S_S_S_S_S_S_S_S_S_S_S_S_S_S_S_S_iiiiiiiddddddddddddddd.kd
    .uniform_work_group_size: 1
    .uses_dynamic_stack: false
    .vgpr_count:     102
    .vgpr_spill_count: 0
    .wavefront_size: 64
amdhsa.target:   amdgcn-amd-amdhsa--gfx950
amdhsa.version:
  - 1
  - 2
...

	.end_amdgpu_metadata
